;; amdgpu-corpus repo=ROCm/rocFFT kind=compiled arch=gfx906 opt=O3
	.text
	.amdgcn_target "amdgcn-amd-amdhsa--gfx906"
	.amdhsa_code_object_version 6
	.protected	fft_rtc_back_len528_factors_4_4_3_11_wgs_48_tpt_48_halfLds_dp_ip_CI_sbrr_dirReg ; -- Begin function fft_rtc_back_len528_factors_4_4_3_11_wgs_48_tpt_48_halfLds_dp_ip_CI_sbrr_dirReg
	.globl	fft_rtc_back_len528_factors_4_4_3_11_wgs_48_tpt_48_halfLds_dp_ip_CI_sbrr_dirReg
	.p2align	8
	.type	fft_rtc_back_len528_factors_4_4_3_11_wgs_48_tpt_48_halfLds_dp_ip_CI_sbrr_dirReg,@function
fft_rtc_back_len528_factors_4_4_3_11_wgs_48_tpt_48_halfLds_dp_ip_CI_sbrr_dirReg: ; @fft_rtc_back_len528_factors_4_4_3_11_wgs_48_tpt_48_halfLds_dp_ip_CI_sbrr_dirReg
; %bb.0:
	s_load_dwordx2 s[2:3], s[4:5], 0x18
	s_load_dwordx4 s[8:11], s[4:5], 0x0
	s_load_dwordx2 s[14:15], s[4:5], 0x50
	v_mul_u32_u24_e32 v1, 0x556, v0
	v_add_u32_sdwa v5, s6, v1 dst_sel:DWORD dst_unused:UNUSED_PAD src0_sel:DWORD src1_sel:WORD_1
	s_waitcnt lgkmcnt(0)
	s_load_dwordx2 s[12:13], s[2:3], 0x0
	v_cmp_lt_u64_e64 s[0:1], s[10:11], 2
	v_mov_b32_e32 v3, 0
	v_mov_b32_e32 v1, 0
	;; [unrolled: 1-line block ×3, first 2 shown]
	s_and_b64 vcc, exec, s[0:1]
	v_mov_b32_e32 v2, 0
	s_cbranch_vccnz .LBB0_8
; %bb.1:
	s_load_dwordx2 s[0:1], s[4:5], 0x10
	s_add_u32 s6, s2, 8
	s_addc_u32 s7, s3, 0
	v_mov_b32_e32 v1, 0
	v_mov_b32_e32 v2, 0
	s_waitcnt lgkmcnt(0)
	s_add_u32 s16, s0, 8
	s_addc_u32 s17, s1, 0
	s_mov_b64 s[18:19], 1
.LBB0_2:                                ; =>This Inner Loop Header: Depth=1
	s_load_dwordx2 s[20:21], s[16:17], 0x0
                                        ; implicit-def: $vgpr7_vgpr8
	s_waitcnt lgkmcnt(0)
	v_or_b32_e32 v4, s21, v6
	v_cmp_ne_u64_e32 vcc, 0, v[3:4]
	s_and_saveexec_b64 s[0:1], vcc
	s_xor_b64 s[22:23], exec, s[0:1]
	s_cbranch_execz .LBB0_4
; %bb.3:                                ;   in Loop: Header=BB0_2 Depth=1
	v_cvt_f32_u32_e32 v4, s20
	v_cvt_f32_u32_e32 v7, s21
	s_sub_u32 s0, 0, s20
	s_subb_u32 s1, 0, s21
	v_mac_f32_e32 v4, 0x4f800000, v7
	v_rcp_f32_e32 v4, v4
	v_mul_f32_e32 v4, 0x5f7ffffc, v4
	v_mul_f32_e32 v7, 0x2f800000, v4
	v_trunc_f32_e32 v7, v7
	v_mac_f32_e32 v4, 0xcf800000, v7
	v_cvt_u32_f32_e32 v7, v7
	v_cvt_u32_f32_e32 v4, v4
	v_mul_lo_u32 v8, s0, v7
	v_mul_hi_u32 v9, s0, v4
	v_mul_lo_u32 v11, s1, v4
	v_mul_lo_u32 v10, s0, v4
	v_add_u32_e32 v8, v9, v8
	v_add_u32_e32 v8, v8, v11
	v_mul_hi_u32 v9, v4, v10
	v_mul_lo_u32 v11, v4, v8
	v_mul_hi_u32 v13, v4, v8
	v_mul_hi_u32 v12, v7, v10
	v_mul_lo_u32 v10, v7, v10
	v_mul_hi_u32 v14, v7, v8
	v_add_co_u32_e32 v9, vcc, v9, v11
	v_addc_co_u32_e32 v11, vcc, 0, v13, vcc
	v_mul_lo_u32 v8, v7, v8
	v_add_co_u32_e32 v9, vcc, v9, v10
	v_addc_co_u32_e32 v9, vcc, v11, v12, vcc
	v_addc_co_u32_e32 v10, vcc, 0, v14, vcc
	v_add_co_u32_e32 v8, vcc, v9, v8
	v_addc_co_u32_e32 v9, vcc, 0, v10, vcc
	v_add_co_u32_e32 v4, vcc, v4, v8
	v_addc_co_u32_e32 v7, vcc, v7, v9, vcc
	v_mul_lo_u32 v8, s0, v7
	v_mul_hi_u32 v9, s0, v4
	v_mul_lo_u32 v10, s1, v4
	v_mul_lo_u32 v11, s0, v4
	v_add_u32_e32 v8, v9, v8
	v_add_u32_e32 v8, v8, v10
	v_mul_lo_u32 v12, v4, v8
	v_mul_hi_u32 v13, v4, v11
	v_mul_hi_u32 v14, v4, v8
	;; [unrolled: 1-line block ×3, first 2 shown]
	v_mul_lo_u32 v11, v7, v11
	v_mul_hi_u32 v9, v7, v8
	v_add_co_u32_e32 v12, vcc, v13, v12
	v_addc_co_u32_e32 v13, vcc, 0, v14, vcc
	v_mul_lo_u32 v8, v7, v8
	v_add_co_u32_e32 v11, vcc, v12, v11
	v_addc_co_u32_e32 v10, vcc, v13, v10, vcc
	v_addc_co_u32_e32 v9, vcc, 0, v9, vcc
	v_add_co_u32_e32 v8, vcc, v10, v8
	v_addc_co_u32_e32 v9, vcc, 0, v9, vcc
	v_add_co_u32_e32 v4, vcc, v4, v8
	v_addc_co_u32_e32 v9, vcc, v7, v9, vcc
	v_mad_u64_u32 v[7:8], s[0:1], v5, v9, 0
	v_mul_hi_u32 v10, v5, v4
	v_add_co_u32_e32 v11, vcc, v10, v7
	v_addc_co_u32_e32 v12, vcc, 0, v8, vcc
	v_mad_u64_u32 v[7:8], s[0:1], v6, v4, 0
	v_mad_u64_u32 v[9:10], s[0:1], v6, v9, 0
	v_add_co_u32_e32 v4, vcc, v11, v7
	v_addc_co_u32_e32 v4, vcc, v12, v8, vcc
	v_addc_co_u32_e32 v7, vcc, 0, v10, vcc
	v_add_co_u32_e32 v4, vcc, v4, v9
	v_addc_co_u32_e32 v9, vcc, 0, v7, vcc
	v_mul_lo_u32 v10, s21, v4
	v_mul_lo_u32 v11, s20, v9
	v_mad_u64_u32 v[7:8], s[0:1], s20, v4, 0
	v_add3_u32 v8, v8, v11, v10
	v_sub_u32_e32 v10, v6, v8
	v_mov_b32_e32 v11, s21
	v_sub_co_u32_e32 v7, vcc, v5, v7
	v_subb_co_u32_e64 v10, s[0:1], v10, v11, vcc
	v_subrev_co_u32_e64 v11, s[0:1], s20, v7
	v_subbrev_co_u32_e64 v10, s[0:1], 0, v10, s[0:1]
	v_cmp_le_u32_e64 s[0:1], s21, v10
	v_cndmask_b32_e64 v12, 0, -1, s[0:1]
	v_cmp_le_u32_e64 s[0:1], s20, v11
	v_cndmask_b32_e64 v11, 0, -1, s[0:1]
	v_cmp_eq_u32_e64 s[0:1], s21, v10
	v_cndmask_b32_e64 v10, v12, v11, s[0:1]
	v_add_co_u32_e64 v11, s[0:1], 2, v4
	v_addc_co_u32_e64 v12, s[0:1], 0, v9, s[0:1]
	v_add_co_u32_e64 v13, s[0:1], 1, v4
	v_addc_co_u32_e64 v14, s[0:1], 0, v9, s[0:1]
	v_subb_co_u32_e32 v8, vcc, v6, v8, vcc
	v_cmp_ne_u32_e64 s[0:1], 0, v10
	v_cmp_le_u32_e32 vcc, s21, v8
	v_cndmask_b32_e64 v10, v14, v12, s[0:1]
	v_cndmask_b32_e64 v12, 0, -1, vcc
	v_cmp_le_u32_e32 vcc, s20, v7
	v_cndmask_b32_e64 v7, 0, -1, vcc
	v_cmp_eq_u32_e32 vcc, s21, v8
	v_cndmask_b32_e32 v7, v12, v7, vcc
	v_cmp_ne_u32_e32 vcc, 0, v7
	v_cndmask_b32_e64 v7, v13, v11, s[0:1]
	v_cndmask_b32_e32 v8, v9, v10, vcc
	v_cndmask_b32_e32 v7, v4, v7, vcc
.LBB0_4:                                ;   in Loop: Header=BB0_2 Depth=1
	s_andn2_saveexec_b64 s[0:1], s[22:23]
	s_cbranch_execz .LBB0_6
; %bb.5:                                ;   in Loop: Header=BB0_2 Depth=1
	v_cvt_f32_u32_e32 v4, s20
	s_sub_i32 s22, 0, s20
	v_rcp_iflag_f32_e32 v4, v4
	v_mul_f32_e32 v4, 0x4f7ffffe, v4
	v_cvt_u32_f32_e32 v4, v4
	v_mul_lo_u32 v7, s22, v4
	v_mul_hi_u32 v7, v4, v7
	v_add_u32_e32 v4, v4, v7
	v_mul_hi_u32 v4, v5, v4
	v_mul_lo_u32 v7, v4, s20
	v_add_u32_e32 v8, 1, v4
	v_sub_u32_e32 v7, v5, v7
	v_subrev_u32_e32 v9, s20, v7
	v_cmp_le_u32_e32 vcc, s20, v7
	v_cndmask_b32_e32 v7, v7, v9, vcc
	v_cndmask_b32_e32 v4, v4, v8, vcc
	v_add_u32_e32 v8, 1, v4
	v_cmp_le_u32_e32 vcc, s20, v7
	v_cndmask_b32_e32 v7, v4, v8, vcc
	v_mov_b32_e32 v8, v3
.LBB0_6:                                ;   in Loop: Header=BB0_2 Depth=1
	s_or_b64 exec, exec, s[0:1]
	v_mul_lo_u32 v4, v8, s20
	v_mul_lo_u32 v11, v7, s21
	v_mad_u64_u32 v[9:10], s[0:1], v7, s20, 0
	s_load_dwordx2 s[0:1], s[6:7], 0x0
	s_add_u32 s18, s18, 1
	v_add3_u32 v4, v10, v11, v4
	v_sub_co_u32_e32 v5, vcc, v5, v9
	v_subb_co_u32_e32 v4, vcc, v6, v4, vcc
	s_waitcnt lgkmcnt(0)
	v_mul_lo_u32 v4, s0, v4
	v_mul_lo_u32 v6, s1, v5
	v_mad_u64_u32 v[1:2], s[0:1], s0, v5, v[1:2]
	s_addc_u32 s19, s19, 0
	s_add_u32 s6, s6, 8
	v_add3_u32 v2, v6, v2, v4
	v_mov_b32_e32 v4, s10
	v_mov_b32_e32 v5, s11
	s_addc_u32 s7, s7, 0
	v_cmp_ge_u64_e32 vcc, s[18:19], v[4:5]
	s_add_u32 s16, s16, 8
	s_addc_u32 s17, s17, 0
	s_cbranch_vccnz .LBB0_9
; %bb.7:                                ;   in Loop: Header=BB0_2 Depth=1
	v_mov_b32_e32 v5, v7
	v_mov_b32_e32 v6, v8
	s_branch .LBB0_2
.LBB0_8:
	v_mov_b32_e32 v8, v6
	v_mov_b32_e32 v7, v5
.LBB0_9:
	s_lshl_b64 s[0:1], s[10:11], 3
	s_add_u32 s0, s2, s0
	s_addc_u32 s1, s3, s1
	s_load_dwordx2 s[2:3], s[0:1], 0x0
	s_load_dwordx2 s[6:7], s[4:5], 0x20
                                        ; implicit-def: $sgpr4
	s_waitcnt lgkmcnt(0)
	v_mad_u64_u32 v[1:2], s[0:1], s2, v7, v[1:2]
	s_mov_b32 s0, 0x5555556
	v_mul_lo_u32 v3, s2, v8
	v_mul_lo_u32 v4, s3, v7
	v_mul_hi_u32 v5, v0, s0
	v_cmp_gt_u64_e32 vcc, s[6:7], v[7:8]
	v_cmp_le_u64_e64 s[0:1], s[6:7], v[7:8]
	v_add3_u32 v2, v4, v2, v3
	v_mul_u32_u24_e32 v3, 48, v5
	v_sub_u32_e32 v66, v0, v3
	v_add_u32_e32 v67, 48, v66
	s_and_saveexec_b64 s[2:3], s[0:1]
	s_xor_b64 s[0:1], exec, s[2:3]
; %bb.10:
	v_add_u32_e32 v67, 48, v66
	s_mov_b32 s4, 0
; %bb.11:
	s_or_saveexec_b64 s[2:3], s[0:1]
	v_lshlrev_b64 v[54:55], 4, v[1:2]
	v_mov_b32_e32 v96, s4
                                        ; implicit-def: $vgpr12_vgpr13
                                        ; implicit-def: $vgpr34_vgpr35
                                        ; implicit-def: $vgpr20_vgpr21
                                        ; implicit-def: $vgpr30_vgpr31
                                        ; implicit-def: $vgpr44_vgpr45
                                        ; implicit-def: $vgpr48_vgpr49
                                        ; implicit-def: $vgpr52_vgpr53
                                        ; implicit-def: $vgpr40_vgpr41
                                        ; implicit-def: $vgpr2_vgpr3
                                        ; implicit-def: $vgpr26_vgpr27
                                        ; implicit-def: $vgpr6_vgpr7
                                        ; implicit-def: $vgpr16_vgpr17
	s_xor_b64 exec, exec, s[2:3]
	s_cbranch_execz .LBB0_15
; %bb.12:
	v_mad_u64_u32 v[0:1], s[0:1], s12, v66, 0
	v_add_u32_e32 v5, 0x84, v66
	v_mov_b32_e32 v4, s15
	v_mad_u64_u32 v[1:2], s[0:1], s13, v66, v[1:2]
	v_mad_u64_u32 v[2:3], s[0:1], s12, v5, 0
	v_add_co_u32_e64 v8, s[0:1], s14, v54
	v_addc_co_u32_e64 v9, s[0:1], v4, v55, s[0:1]
	v_mad_u64_u32 v[3:4], s[0:1], s13, v5, v[3:4]
	v_add_u32_e32 v6, 0x108, v66
	v_mad_u64_u32 v[4:5], s[0:1], s12, v6, 0
	v_lshlrev_b64 v[0:1], 4, v[0:1]
	v_add_u32_e32 v10, 0x18c, v66
	v_add_co_u32_e64 v0, s[0:1], v8, v0
	v_addc_co_u32_e64 v1, s[0:1], v9, v1, s[0:1]
	v_mad_u64_u32 v[5:6], s[0:1], s13, v6, v[5:6]
	v_mad_u64_u32 v[6:7], s[0:1], s12, v10, 0
	v_lshlrev_b64 v[2:3], 4, v[2:3]
	v_lshlrev_b64 v[4:5], 4, v[4:5]
	v_add_co_u32_e64 v2, s[0:1], v8, v2
	v_addc_co_u32_e64 v3, s[0:1], v9, v3, s[0:1]
	v_mad_u64_u32 v[10:11], s[0:1], s13, v10, v[7:8]
	v_mad_u64_u32 v[11:12], s[0:1], s12, v67, 0
	v_add_co_u32_e64 v22, s[0:1], v8, v4
	v_mov_b32_e32 v7, v10
	v_addc_co_u32_e64 v23, s[0:1], v9, v5, s[0:1]
	v_lshlrev_b64 v[4:5], 4, v[6:7]
	v_mov_b32_e32 v6, v12
	v_mad_u64_u32 v[6:7], s[0:1], s13, v67, v[6:7]
	v_add_u32_e32 v7, 0xb4, v66
	v_mad_u64_u32 v[13:14], s[0:1], s12, v7, 0
	v_add_co_u32_e64 v36, s[0:1], v8, v4
	v_mov_b32_e32 v12, v6
	v_mov_b32_e32 v6, v14
	v_addc_co_u32_e64 v37, s[0:1], v9, v5, s[0:1]
	v_mad_u64_u32 v[6:7], s[0:1], s13, v7, v[6:7]
	v_add_u32_e32 v7, 0x138, v66
	v_lshlrev_b64 v[4:5], 4, v[11:12]
	v_mad_u64_u32 v[10:11], s[0:1], s12, v7, 0
	v_add_co_u32_e64 v38, s[0:1], v8, v4
	v_mov_b32_e32 v14, v6
	v_mov_b32_e32 v6, v11
	v_addc_co_u32_e64 v39, s[0:1], v9, v5, s[0:1]
	v_mad_u64_u32 v[6:7], s[0:1], s13, v7, v[6:7]
	v_add_u32_e32 v7, 0x1bc, v66
	v_mad_u64_u32 v[18:19], s[0:1], s12, v7, 0
	v_lshlrev_b64 v[4:5], 4, v[13:14]
	v_mov_b32_e32 v11, v6
	v_add_co_u32_e64 v40, s[0:1], v8, v4
	v_mov_b32_e32 v6, v19
	v_addc_co_u32_e64 v41, s[0:1], v9, v5, s[0:1]
	v_mad_u64_u32 v[6:7], s[0:1], s13, v7, v[6:7]
	v_lshlrev_b64 v[4:5], 4, v[10:11]
	global_load_dwordx4 v[14:17], v[0:1], off
	global_load_dwordx4 v[10:13], v[2:3], off
	v_mov_b32_e32 v19, v6
	v_add_co_u32_e64 v42, s[0:1], v8, v4
	v_lshlrev_b64 v[0:1], 4, v[18:19]
	v_addc_co_u32_e64 v43, s[0:1], v9, v5, s[0:1]
	v_add_co_u32_e64 v44, s[0:1], v8, v0
	v_addc_co_u32_e64 v45, s[0:1], v9, v1, s[0:1]
	global_load_dwordx4 v[32:35], v[22:23], off
	global_load_dwordx4 v[4:7], v[36:37], off
	;; [unrolled: 1-line block ×6, first 2 shown]
	v_cmp_gt_u32_e64 s[0:1], 36, v66
                                        ; implicit-def: $vgpr38_vgpr39
                                        ; implicit-def: $vgpr50_vgpr51
                                        ; implicit-def: $vgpr46_vgpr47
                                        ; implicit-def: $vgpr42_vgpr43
	s_and_saveexec_b64 s[4:5], s[0:1]
	s_cbranch_execz .LBB0_14
; %bb.13:
	v_add_u32_e32 v38, 0x60, v66
	v_mad_u64_u32 v[22:23], s[0:1], s12, v38, 0
	v_add_u32_e32 v40, 0xe4, v66
	v_mad_u64_u32 v[36:37], s[0:1], s12, v40, 0
	s_waitcnt vmcnt(3)
	v_mad_u64_u32 v[38:39], s[0:1], s13, v38, v[23:24]
	v_add_u32_e32 v39, 0x168, v66
	v_add_u32_e32 v50, 0x1ec, v66
	v_mov_b32_e32 v23, v38
	v_lshlrev_b64 v[22:23], 4, v[22:23]
	v_mad_u64_u32 v[37:38], s[0:1], s13, v40, v[37:38]
	v_add_co_u32_e64 v22, s[0:1], v8, v22
	v_addc_co_u32_e64 v23, s[0:1], v9, v23, s[0:1]
	v_mad_u64_u32 v[46:47], s[0:1], s12, v39, 0
	v_lshlrev_b64 v[36:37], 4, v[36:37]
	v_add_co_u32_e64 v36, s[0:1], v8, v36
	v_mov_b32_e32 v38, v47
	v_addc_co_u32_e64 v37, s[0:1], v9, v37, s[0:1]
	v_mad_u64_u32 v[47:48], s[0:1], s13, v39, v[38:39]
	v_mad_u64_u32 v[48:49], s[0:1], s12, v50, 0
	global_load_dwordx4 v[38:41], v[22:23], off
	global_load_dwordx4 v[42:45], v[36:37], off
	v_lshlrev_b64 v[22:23], 4, v[46:47]
	v_mov_b32_e32 v36, v49
	v_mad_u64_u32 v[36:37], s[0:1], s13, v50, v[36:37]
	v_add_co_u32_e64 v22, s[0:1], v8, v22
	v_mov_b32_e32 v49, v36
	v_lshlrev_b64 v[36:37], 4, v[48:49]
	v_addc_co_u32_e64 v23, s[0:1], v9, v23, s[0:1]
	v_add_co_u32_e64 v8, s[0:1], v8, v36
	v_addc_co_u32_e64 v9, s[0:1], v9, v37, s[0:1]
	global_load_dwordx4 v[46:49], v[22:23], off
	global_load_dwordx4 v[50:53], v[8:9], off
.LBB0_14:
	s_or_b64 exec, exec, s[4:5]
	v_mov_b32_e32 v96, v66
.LBB0_15:
	s_or_b64 exec, exec, s[2:3]
	s_waitcnt vmcnt(5)
	v_add_f64 v[22:23], v[14:15], -v[32:33]
	s_waitcnt vmcnt(4)
	v_add_f64 v[32:33], v[10:11], -v[4:5]
	;; [unrolled: 2-line block ×4, first 2 shown]
	v_add_f64 v[59:60], v[38:39], -v[46:47]
	v_add_f64 v[46:47], v[42:43], -v[50:51]
	;; [unrolled: 1-line block ×3, first 2 shown]
	v_add_u32_e32 v70, 0x60, v66
	v_fma_f64 v[50:51], v[14:15], 2.0, -v[22:23]
	v_fma_f64 v[0:1], v[10:11], 2.0, -v[32:33]
	v_add_f64 v[14:15], v[20:21], -v[2:3]
	v_fma_f64 v[24:25], v[24:25], 2.0, -v[36:37]
	v_fma_f64 v[2:3], v[18:19], 2.0, -v[28:29]
	;; [unrolled: 1-line block ×3, first 2 shown]
	v_add_f64 v[18:19], v[44:45], -v[52:53]
	v_fma_f64 v[38:39], v[42:43], 2.0, -v[46:47]
	v_add_f64 v[6:7], v[56:57], v[22:23]
	v_add_f64 v[4:5], v[50:51], -v[0:1]
	v_add_f64 v[10:11], v[14:15], v[36:37]
	v_lshl_add_u32 v43, v66, 5, 0
	v_add_f64 v[8:9], v[24:25], -v[2:3]
	v_lshl_add_u32 v58, v67, 5, 0
	v_add_f64 v[2:3], v[18:19], v[59:60]
	v_add_f64 v[0:1], v[61:62], -v[38:39]
	v_fma_f64 v[38:39], v[22:23], 2.0, -v[6:7]
	v_cmp_gt_u32_e64 s[0:1], 36, v66
	v_fma_f64 v[52:53], v[36:37], 2.0, -v[10:11]
	v_fma_f64 v[36:37], v[50:51], 2.0, -v[4:5]
	;; [unrolled: 1-line block ×3, first 2 shown]
	v_lshl_add_u32 v42, v70, 5, 0
	v_fma_f64 v[24:25], v[59:60], 2.0, -v[2:3]
	v_fma_f64 v[22:23], v[61:62], 2.0, -v[0:1]
	ds_write_b128 v43, v[4:7] offset:16
	ds_write_b128 v58, v[8:11] offset:16
	ds_write_b128 v43, v[36:39]
	ds_write_b128 v58, v[50:53]
	s_and_saveexec_b64 s[2:3], s[0:1]
	s_cbranch_execz .LBB0_17
; %bb.16:
	ds_write_b128 v42, v[22:25]
	ds_write_b128 v42, v[0:3] offset:16
.LBB0_17:
	s_or_b64 exec, exec, s[2:3]
	s_movk_i32 s2, 0xffe8
	v_mad_i32_i24 v52, v66, s2, v43
	v_add_u32_e32 v4, 0x400, v52
	v_add_u32_e32 v8, 0x800, v52
	v_mad_i32_i24 v50, v67, s2, v58
	s_waitcnt lgkmcnt(0)
	; wave barrier
	s_waitcnt lgkmcnt(0)
	ds_read2_b64 v[36:39], v52 offset1:132
	ds_read2_b64 v[4:7], v4 offset0:52 offset1:136
	ds_read2_b64 v[8:11], v8 offset0:56 offset1:140
	ds_read_b64 v[50:51], v50
	ds_read_b64 v[52:53], v52 offset:3552
	v_mul_i32_i24_e32 v59, 0xffffffe8, v66
	v_add_u32_e32 v68, v43, v59
	s_and_saveexec_b64 s[2:3], s[0:1]
	s_cbranch_execz .LBB0_19
; %bb.18:
	v_add_u32_e32 v0, 0x800, v68
	ds_read2_b64 v[22:25], v68 offset0:96 offset1:228
	ds_read2_b64 v[0:3], v0 offset0:104 offset1:236
.LBB0_19:
	s_or_b64 exec, exec, s[2:3]
	v_add_f64 v[59:60], v[16:17], -v[34:35]
	v_add_f64 v[48:49], v[40:41], -v[48:49]
	;; [unrolled: 1-line block ×3, first 2 shown]
	v_fma_f64 v[14:15], v[20:21], 2.0, -v[14:15]
	v_fma_f64 v[12:13], v[12:13], 2.0, -v[56:57]
	s_waitcnt lgkmcnt(0)
	; wave barrier
	s_waitcnt lgkmcnt(0)
	v_fma_f64 v[20:21], v[16:17], 2.0, -v[59:60]
	v_fma_f64 v[16:17], v[44:45], 2.0, -v[18:19]
	;; [unrolled: 1-line block ×4, first 2 shown]
	v_add_f64 v[18:19], v[48:49], -v[46:47]
	v_add_f64 v[30:31], v[59:60], -v[32:33]
	;; [unrolled: 1-line block ×6, first 2 shown]
	v_fma_f64 v[14:15], v[48:49], 2.0, -v[18:19]
	v_fma_f64 v[46:47], v[59:60], 2.0, -v[30:31]
	v_fma_f64 v[61:62], v[61:62], 2.0, -v[34:35]
	v_fma_f64 v[44:45], v[20:21], 2.0, -v[28:29]
	v_mul_i32_i24_e32 v20, 0xffffffe8, v67
	v_fma_f64 v[12:13], v[40:41], 2.0, -v[16:17]
	v_fma_f64 v[59:60], v[26:27], 2.0, -v[32:33]
	ds_write_b128 v43, v[28:31] offset:16
	ds_write_b128 v43, v[44:47]
	ds_write_b128 v58, v[59:62]
	ds_write_b128 v58, v[32:35] offset:16
	s_and_saveexec_b64 s[2:3], s[0:1]
	s_cbranch_execz .LBB0_21
; %bb.20:
	ds_write_b128 v42, v[12:15]
	ds_write_b128 v42, v[16:19] offset:16
.LBB0_21:
	s_or_b64 exec, exec, s[2:3]
	v_add_u32_e32 v21, 0x400, v68
	v_add_u32_e32 v44, 0x800, v68
	;; [unrolled: 1-line block ×3, first 2 shown]
	s_waitcnt lgkmcnt(0)
	; wave barrier
	s_waitcnt lgkmcnt(0)
	ds_read2_b64 v[26:29], v68 offset1:132
	ds_read2_b64 v[30:33], v21 offset0:52 offset1:136
	ds_read2_b64 v[40:43], v44 offset0:56 offset1:140
	ds_read_b64 v[34:35], v69
	ds_read_b64 v[20:21], v68 offset:3552
	v_lshlrev_b32_e32 v49, 2, v66
	v_lshlrev_b32_e32 v48, 2, v67
	s_and_saveexec_b64 s[2:3], s[0:1]
	s_cbranch_execz .LBB0_23
; %bb.22:
	ds_read2_b64 v[12:15], v68 offset0:96 offset1:228
	ds_read2_b64 v[16:19], v44 offset0:104 offset1:236
.LBB0_23:
	s_or_b64 exec, exec, s[2:3]
	v_and_b32_e32 v72, 3, v66
	v_mul_u32_u24_e32 v44, 3, v72
	v_lshlrev_b32_e32 v56, 4, v44
	global_load_dwordx4 v[60:63], v56, s[8:9]
	global_load_dwordx4 v[44:47], v56, s[8:9] offset:16
	global_load_dwordx4 v[73:76], v56, s[8:9] offset:32
	s_movk_i32 s2, 0xf0
	s_movk_i32 s3, 0x1f0
	v_and_or_b32 v71, v49, s2, v72
	s_waitcnt lgkmcnt(0)
	; wave barrier
	s_waitcnt vmcnt(2) lgkmcnt(0)
	v_mul_f64 v[56:57], v[28:29], v[62:63]
	v_mul_f64 v[58:59], v[38:39], v[62:63]
	s_waitcnt vmcnt(1)
	v_mul_f64 v[64:65], v[32:33], v[46:47]
	s_waitcnt vmcnt(0)
	v_mul_f64 v[77:78], v[42:43], v[75:76]
	v_mul_f64 v[83:84], v[4:5], v[62:63]
	;; [unrolled: 1-line block ×12, first 2 shown]
	v_fma_f64 v[38:39], v[38:39], v[60:61], v[56:57]
	v_fma_f64 v[56:57], v[28:29], v[60:61], -v[58:59]
	v_fma_f64 v[28:29], v[6:7], v[44:45], v[64:65]
	v_fma_f64 v[64:65], v[10:11], v[73:74], v[77:78]
	v_fma_f64 v[58:59], v[30:31], v[60:61], -v[83:84]
	v_fma_f64 v[30:31], v[8:9], v[44:45], v[85:86]
	v_fma_f64 v[4:5], v[4:5], v[60:61], v[81:82]
	v_fma_f64 v[52:53], v[52:53], v[73:74], v[87:88]
	v_fma_f64 v[42:43], v[42:43], v[73:74], -v[79:80]
	v_fma_f64 v[20:21], v[20:21], v[73:74], -v[89:90]
	v_fma_f64 v[24:25], v[24:25], v[60:61], v[91:92]
	v_fma_f64 v[10:11], v[14:15], v[60:61], -v[62:63]
	v_fma_f64 v[60:61], v[0:1], v[44:45], v[93:94]
	v_add_f64 v[28:29], v[36:37], -v[28:29]
	v_add_f64 v[14:15], v[38:39], -v[64:65]
	;; [unrolled: 1-line block ×3, first 2 shown]
	v_fma_f64 v[2:3], v[2:3], v[73:74], v[97:98]
	v_fma_f64 v[18:19], v[18:19], v[73:74], -v[75:76]
	v_add_f64 v[52:53], v[4:5], -v[52:53]
	v_add_f64 v[64:65], v[56:57], -v[42:43]
	;; [unrolled: 1-line block ×3, first 2 shown]
	v_fma_f64 v[20:21], v[36:37], 2.0, -v[28:29]
	v_fma_f64 v[36:37], v[38:39], 2.0, -v[14:15]
	;; [unrolled: 1-line block ×3, first 2 shown]
	v_add_f64 v[42:43], v[22:23], -v[60:61]
	v_add_f64 v[50:51], v[24:25], -v[2:3]
	;; [unrolled: 1-line block ×3, first 2 shown]
	v_fma_f64 v[4:5], v[4:5], 2.0, -v[52:53]
	v_and_or_b32 v74, v48, s3, v72
	v_add_f64 v[48:49], v[28:29], v[64:65]
	v_add_f64 v[77:78], v[20:21], -v[36:37]
	v_add_f64 v[75:76], v[30:31], v[62:63]
	v_fma_f64 v[18:19], v[22:23], 2.0, -v[42:43]
	v_fma_f64 v[2:3], v[24:25], 2.0, -v[50:51]
	v_add_f64 v[36:37], v[42:43], v[60:61]
	v_add_f64 v[79:80], v[38:39], -v[4:5]
	v_lshl_add_u32 v73, v71, 3, 0
	v_fma_f64 v[22:23], v[28:29], 2.0, -v[48:49]
	v_fma_f64 v[20:21], v[20:21], 2.0, -v[77:78]
	;; [unrolled: 1-line block ×3, first 2 shown]
	v_lshl_add_u32 v74, v74, 3, 0
	v_add_f64 v[4:5], v[18:19], -v[2:3]
	v_fma_f64 v[2:3], v[42:43], 2.0, -v[36:37]
	v_fma_f64 v[28:29], v[38:39], 2.0, -v[79:80]
	ds_write2_b64 v73, v[77:78], v[48:49] offset0:8 offset1:12
	ds_write2_b64 v73, v[20:21], v[22:23] offset1:4
	ds_write2_b64 v74, v[28:29], v[24:25] offset1:4
	ds_write2_b64 v74, v[79:80], v[75:76] offset0:8 offset1:12
	v_lshlrev_b32_e32 v75, 2, v70
	s_and_saveexec_b64 s[2:3], s[0:1]
	s_cbranch_execz .LBB0_25
; %bb.24:
	v_fma_f64 v[18:19], v[18:19], 2.0, -v[4:5]
	s_movk_i32 s4, 0x3f0
	v_and_or_b32 v20, v75, s4, v72
	v_lshl_add_u32 v20, v20, 3, 0
	ds_write2_b64 v20, v[18:19], v[2:3] offset1:4
	ds_write2_b64 v20, v[4:5], v[36:37] offset0:8 offset1:12
.LBB0_25:
	s_or_b64 exec, exec, s[2:3]
	v_add_u32_e32 v22, 0x800, v68
	v_add_u32_e32 v28, 0x400, v68
	s_waitcnt lgkmcnt(0)
	; wave barrier
	s_waitcnt lgkmcnt(0)
	ds_read2_b64 v[18:21], v68 offset1:176
	ds_read2_b64 v[22:25], v22 offset0:96 offset1:144
	ds_read2_b64 v[28:31], v28 offset0:96 offset1:144
	v_lshl_add_u32 v71, v66, 3, 0
	ds_read_b64 v[48:49], v68 offset:3584
	ds_read_b64 v[42:43], v69
	ds_read_b64 v[38:39], v71 offset:768
	v_cmp_gt_u32_e64 s[2:3], 32, v66
	s_and_saveexec_b64 s[4:5], s[2:3]
	s_cbranch_execz .LBB0_27
; %bb.26:
	v_add_u32_e32 v2, 0x400, v71
	ds_read2_b64 v[2:5], v2 offset0:16 offset1:192
	ds_read_b64 v[36:37], v68 offset:3968
.LBB0_27:
	s_or_b64 exec, exec, s[4:5]
	v_mul_f64 v[6:7], v[6:7], v[46:47]
	v_mul_f64 v[8:9], v[8:9], v[46:47]
	;; [unrolled: 1-line block ×3, first 2 shown]
	v_fma_f64 v[10:11], v[10:11], 2.0, -v[60:61]
	s_waitcnt lgkmcnt(0)
	; wave barrier
	s_waitcnt lgkmcnt(0)
	v_fma_f64 v[6:7], v[32:33], v[44:45], -v[6:7]
	v_fma_f64 v[8:9], v[40:41], v[44:45], -v[8:9]
	;; [unrolled: 1-line block ×3, first 2 shown]
	v_fma_f64 v[16:17], v[56:57], 2.0, -v[64:65]
	v_fma_f64 v[32:33], v[58:59], 2.0, -v[62:63]
	v_add_f64 v[6:7], v[26:27], -v[6:7]
	v_add_f64 v[8:9], v[34:35], -v[8:9]
	;; [unrolled: 1-line block ×3, first 2 shown]
	v_fma_f64 v[26:27], v[26:27], 2.0, -v[6:7]
	v_fma_f64 v[34:35], v[34:35], 2.0, -v[8:9]
	v_add_f64 v[14:15], v[6:7], -v[14:15]
	v_add_f64 v[46:47], v[8:9], -v[52:53]
	v_fma_f64 v[0:1], v[12:13], 2.0, -v[44:45]
	v_add_f64 v[40:41], v[44:45], -v[50:51]
	v_add_f64 v[16:17], v[26:27], -v[16:17]
	;; [unrolled: 1-line block ×3, first 2 shown]
	v_fma_f64 v[12:13], v[6:7], 2.0, -v[14:15]
	v_fma_f64 v[50:51], v[8:9], 2.0, -v[46:47]
	v_add_f64 v[8:9], v[0:1], -v[10:11]
	v_fma_f64 v[6:7], v[44:45], 2.0, -v[40:41]
	v_fma_f64 v[26:27], v[26:27], 2.0, -v[16:17]
	;; [unrolled: 1-line block ×3, first 2 shown]
	ds_write2_b64 v73, v[16:17], v[14:15] offset0:8 offset1:12
	ds_write2_b64 v73, v[26:27], v[12:13] offset1:4
	ds_write2_b64 v74, v[34:35], v[50:51] offset1:4
	ds_write2_b64 v74, v[32:33], v[46:47] offset0:8 offset1:12
	s_and_saveexec_b64 s[4:5], s[0:1]
	s_cbranch_execz .LBB0_29
; %bb.28:
	v_fma_f64 v[0:1], v[0:1], 2.0, -v[8:9]
	s_movk_i32 s0, 0x3f0
	v_and_or_b32 v10, v75, s0, v72
	v_lshl_add_u32 v10, v10, 3, 0
	ds_write2_b64 v10, v[0:1], v[6:7] offset1:4
	ds_write2_b64 v10, v[8:9], v[40:41] offset0:8 offset1:12
.LBB0_29:
	s_or_b64 exec, exec, s[4:5]
	v_add_u32_e32 v0, 0x800, v68
	s_waitcnt lgkmcnt(0)
	; wave barrier
	s_waitcnt lgkmcnt(0)
	ds_read2_b64 v[32:35], v0 offset0:96 offset1:144
	v_add_u32_e32 v0, 0x400, v68
	ds_read2_b64 v[10:13], v68 offset1:176
	ds_read2_b64 v[14:17], v0 offset0:96 offset1:144
	ds_read_b64 v[44:45], v68 offset:3584
	ds_read_b64 v[26:27], v69
	ds_read_b64 v[0:1], v71 offset:768
	s_and_saveexec_b64 s[0:1], s[2:3]
	s_cbranch_execz .LBB0_31
; %bb.30:
	v_add_u32_e32 v6, 0x400, v71
	ds_read2_b64 v[6:9], v6 offset0:16 offset1:192
	ds_read_b64 v[40:41], v68 offset:3968
.LBB0_31:
	s_or_b64 exec, exec, s[0:1]
	v_and_b32_e32 v60, 15, v66
	v_lshlrev_b32_e32 v46, 5, v60
	global_load_dwordx4 v[72:75], v46, s[8:9] offset:192
	global_load_dwordx4 v[76:79], v46, s[8:9] offset:208
	v_lshrrev_b32_e32 v47, 4, v67
	v_mul_lo_u32 v47, v47, 48
	v_lshrrev_b32_e32 v46, 4, v66
	v_lshrrev_b32_e32 v50, 4, v70
	v_mul_u32_u24_e32 v46, 48, v46
	v_mul_u32_u24_e32 v50, 48, v50
	v_or_b32_e32 v46, v46, v60
	v_or_b32_e32 v50, v50, v60
	v_lshl_add_u32 v62, v46, 3, 0
	v_or_b32_e32 v46, v47, v60
	v_lshl_add_u32 v61, v50, 3, 0
	v_lshl_add_u32 v63, v46, 3, 0
	s_mov_b32 s0, 0xe8584caa
	s_mov_b32 s1, 0xbfebb67a
	;; [unrolled: 1-line block ×4, first 2 shown]
	v_add_u32_e32 v99, 0x90, v66
	s_waitcnt lgkmcnt(0)
	; wave barrier
	s_waitcnt vmcnt(1) lgkmcnt(0)
	v_mul_f64 v[46:47], v[12:13], v[74:75]
	v_mul_f64 v[50:51], v[20:21], v[74:75]
	s_waitcnt vmcnt(0)
	v_mul_f64 v[52:53], v[32:33], v[78:79]
	v_mul_f64 v[64:65], v[14:15], v[74:75]
	;; [unrolled: 1-line block ×11, first 2 shown]
	v_fma_f64 v[46:47], v[20:21], v[72:73], v[46:47]
	v_fma_f64 v[58:59], v[12:13], v[72:73], -v[50:51]
	v_fma_f64 v[50:51], v[22:23], v[76:77], v[52:53]
	v_fma_f64 v[22:23], v[28:29], v[72:73], v[64:65]
	;; [unrolled: 1-line block ×3, first 2 shown]
	v_mul_f64 v[92:93], v[48:49], v[78:79]
	v_fma_f64 v[12:13], v[32:33], v[76:77], -v[56:57]
	v_fma_f64 v[20:21], v[34:35], v[76:77], -v[84:85]
	v_fma_f64 v[32:33], v[30:31], v[72:73], v[86:87]
	v_fma_f64 v[34:35], v[48:49], v[76:77], v[90:91]
	v_fma_f64 v[56:57], v[14:15], v[72:73], -v[80:81]
	v_add_f64 v[28:29], v[46:47], v[50:51]
	v_fma_f64 v[24:25], v[8:9], v[72:73], -v[74:75]
	v_add_f64 v[8:9], v[22:23], v[52:53]
	v_fma_f64 v[16:17], v[16:17], v[72:73], -v[88:89]
	v_fma_f64 v[14:15], v[44:45], v[76:77], -v[92:93]
	v_mul_f64 v[97:98], v[40:41], v[78:79]
	v_add_f64 v[44:45], v[32:33], v[34:35]
	v_mul_f64 v[78:79], v[36:37], v[78:79]
	v_add_f64 v[30:31], v[18:19], v[46:47]
	v_add_f64 v[48:49], v[58:59], -v[12:13]
	v_fma_f64 v[18:19], v[28:29], -0.5, v[18:19]
	v_add_f64 v[28:29], v[56:57], -v[20:21]
	v_fma_f64 v[8:9], v[8:9], -0.5, v[42:43]
	v_add_f64 v[64:65], v[42:43], v[22:23]
	v_fma_f64 v[4:5], v[4:5], v[72:73], v[94:95]
	v_add_f64 v[72:73], v[38:39], v[32:33]
	v_add_f64 v[42:43], v[16:17], -v[14:15]
	v_fma_f64 v[38:39], v[44:45], -0.5, v[38:39]
	v_add_f64 v[44:45], v[30:31], v[50:51]
	v_fma_f64 v[74:75], v[48:49], s[0:1], v[18:19]
	v_fma_f64 v[18:19], v[48:49], s[4:5], v[18:19]
	;; [unrolled: 1-line block ×5, first 2 shown]
	v_fma_f64 v[28:29], v[40:41], v[76:77], -v[78:79]
	v_add_f64 v[64:65], v[64:65], v[52:53]
	v_add_f64 v[72:73], v[72:73], v[34:35]
	v_fma_f64 v[80:81], v[42:43], s[0:1], v[38:39]
	v_fma_f64 v[38:39], v[42:43], s[4:5], v[38:39]
	v_lshrrev_b32_e32 v36, 4, v99
	ds_write2_b64 v62, v[44:45], v[74:75] offset1:16
	ds_write_b64 v62, v[18:19] offset:256
	ds_write2_b64 v63, v[64:65], v[48:49] offset1:16
	ds_write_b64 v63, v[8:9] offset:256
	;; [unrolled: 2-line block ×3, first 2 shown]
	s_and_saveexec_b64 s[6:7], s[2:3]
	s_cbranch_execz .LBB0_33
; %bb.32:
	v_add_f64 v[8:9], v[4:5], v[30:31]
	v_add_f64 v[18:19], v[24:25], -v[28:29]
	v_add_f64 v[37:38], v[2:3], v[4:5]
	v_fma_f64 v[2:3], v[8:9], -0.5, v[2:3]
	v_add_f64 v[8:9], v[37:38], v[30:31]
	v_fma_f64 v[37:38], v[18:19], s[0:1], v[2:3]
	v_fma_f64 v[2:3], v[18:19], s[4:5], v[2:3]
	v_mul_u32_u24_e32 v18, 48, v36
	v_or_b32_e32 v18, v18, v60
	v_lshl_add_u32 v18, v18, 3, 0
	ds_write2_b64 v18, v[8:9], v[37:38] offset1:16
	ds_write_b64 v18, v[2:3] offset:256
.LBB0_33:
	s_or_b64 exec, exec, s[6:7]
	v_add_f64 v[2:3], v[58:59], v[12:13]
	v_add_f64 v[8:9], v[56:57], v[20:21]
	;; [unrolled: 1-line block ×4, first 2 shown]
	v_add_f64 v[39:40], v[46:47], -v[50:51]
	v_add_f64 v[41:42], v[26:27], v[56:57]
	v_add_f64 v[16:17], v[0:1], v[16:17]
	s_waitcnt lgkmcnt(0)
	v_fma_f64 v[2:3], v[2:3], -0.5, v[10:11]
	v_add_f64 v[10:11], v[22:23], -v[52:53]
	v_fma_f64 v[8:9], v[8:9], -0.5, v[26:27]
	v_add_f64 v[22:23], v[32:33], -v[34:35]
	v_fma_f64 v[0:1], v[37:38], -0.5, v[0:1]
	v_add_f64 v[26:27], v[18:19], v[12:13]
	v_add_f64 v[34:35], v[41:42], v[20:21]
	;; [unrolled: 1-line block ×3, first 2 shown]
	v_fma_f64 v[37:38], v[39:40], s[4:5], v[2:3]
	v_fma_f64 v[39:40], v[39:40], s[0:1], v[2:3]
	;; [unrolled: 1-line block ×6, first 2 shown]
	; wave barrier
	ds_read2st64_b64 v[0:3], v68 offset1:3
	ds_read_b64 v[32:33], v69
	ds_read2_b64 v[8:11], v71 offset0:96 offset1:144
	v_add_u32_e32 v12, 0x400, v68
	v_add_u32_e32 v16, 0x800, v68
	ds_read2_b64 v[20:23], v12 offset0:112 offset1:160
	ds_read2_b64 v[12:15], v16 offset0:80 offset1:128
	;; [unrolled: 1-line block ×3, first 2 shown]
	s_waitcnt lgkmcnt(0)
	; wave barrier
	s_waitcnt lgkmcnt(0)
	ds_write2_b64 v62, v[26:27], v[37:38] offset1:16
	ds_write_b64 v62, v[39:40] offset:256
	ds_write2_b64 v63, v[34:35], v[41:42] offset1:16
	ds_write_b64 v63, v[43:44] offset:256
	ds_write2_b64 v61, v[45:46], v[47:48] offset1:16
	ds_write_b64 v61, v[49:50] offset:256
	s_and_saveexec_b64 s[0:1], s[2:3]
	s_cbranch_execz .LBB0_35
; %bb.34:
	v_add_f64 v[26:27], v[24:25], v[28:29]
	v_add_f64 v[24:25], v[6:7], v[24:25]
	v_add_f64 v[4:5], v[4:5], -v[30:31]
	s_mov_b32 s3, 0x3febb67a
	s_mov_b32 s2, 0xe8584caa
	v_fma_f64 v[6:7], v[26:27], -0.5, v[6:7]
	v_add_f64 v[24:25], v[24:25], v[28:29]
	v_fma_f64 v[26:27], v[4:5], s[2:3], v[6:7]
	s_mov_b32 s3, 0xbfebb67a
	v_fma_f64 v[4:5], v[4:5], s[2:3], v[6:7]
	v_mul_u32_u24_e32 v6, 48, v36
	v_or_b32_e32 v6, v6, v60
	v_lshl_add_u32 v6, v6, 3, 0
	ds_write2_b64 v6, v[24:25], v[26:27] offset1:16
	ds_write_b64 v6, v[4:5] offset:256
.LBB0_35:
	s_or_b64 exec, exec, s[0:1]
	s_waitcnt lgkmcnt(0)
	; wave barrier
	s_waitcnt lgkmcnt(0)
	s_and_saveexec_b64 s[0:1], vcc
	s_cbranch_execz .LBB0_37
; %bb.36:
	v_mul_u32_u24_e32 v4, 10, v66
	v_lshlrev_b32_e32 v4, 4, v4
	global_load_dwordx4 v[28:31], v4, s[8:9] offset:768
	global_load_dwordx4 v[24:27], v4, s[8:9] offset:784
	;; [unrolled: 1-line block ×10, first 2 shown]
	v_add_u32_e32 v36, 0x400, v68
	v_add_u32_e32 v37, 0x800, v68
	ds_read2st64_b64 v[4:7], v68 offset1:3
	ds_read2_b64 v[70:73], v71 offset0:96 offset1:144
	ds_read_b64 v[34:35], v69
	ds_read2_b64 v[86:89], v36 offset0:112 offset1:160
	ds_read2_b64 v[90:93], v37 offset0:176 offset1:224
	;; [unrolled: 1-line block ×3, first 2 shown]
	s_mov_b32 s2, 0xfd768dbf
	s_mov_b32 s3, 0xbfd207e7
	;; [unrolled: 1-line block ×26, first 2 shown]
	s_waitcnt vmcnt(9)
	v_mul_f64 v[36:37], v[20:21], v[28:29]
	v_mul_f64 v[20:21], v[20:21], v[30:31]
	s_waitcnt vmcnt(8)
	v_mul_f64 v[52:53], v[22:23], v[24:25]
	s_waitcnt vmcnt(6)
	;; [unrolled: 2-line block ×3, first 2 shown]
	v_mul_f64 v[80:81], v[18:19], v[48:49]
	v_mul_f64 v[22:23], v[22:23], v[26:27]
	;; [unrolled: 1-line block ×4, first 2 shown]
	s_waitcnt vmcnt(4)
	v_mul_f64 v[94:95], v[8:9], v[56:57]
	v_mul_f64 v[101:102], v[32:33], v[46:47]
	s_waitcnt vmcnt(2)
	v_mul_f64 v[105:106], v[10:11], v[64:65]
	s_waitcnt vmcnt(0)
	v_mul_f64 v[109:110], v[2:3], v[82:83]
	v_mul_f64 v[111:112], v[2:3], v[84:85]
	s_waitcnt lgkmcnt(2)
	v_fma_f64 v[36:37], v[86:87], v[30:31], v[36:37]
	v_fma_f64 v[42:43], v[86:87], v[28:29], -v[20:21]
	v_fma_f64 v[86:87], v[34:35], v[46:47], v[74:75]
	s_waitcnt lgkmcnt(1)
	v_fma_f64 v[2:3], v[92:93], v[50:51], v[80:81]
	v_mul_f64 v[16:17], v[16:17], v[40:41]
	v_mul_f64 v[8:9], v[8:9], v[58:59]
	;; [unrolled: 1-line block ×4, first 2 shown]
	v_fma_f64 v[26:27], v[88:89], v[26:27], v[52:53]
	v_fma_f64 v[32:33], v[88:89], v[24:25], -v[22:23]
	v_fma_f64 v[20:21], v[90:91], v[40:41], v[68:69]
	v_fma_f64 v[18:19], v[92:93], v[48:49], -v[18:19]
	;; [unrolled: 2-line block ×3, first 2 shown]
	v_fma_f64 v[68:69], v[72:73], v[66:67], v[105:106]
	v_add_f64 v[105:106], v[86:87], -v[2:3]
	v_mul_f64 v[103:104], v[12:13], v[60:61]
	v_mul_f64 v[10:11], v[10:11], v[66:67]
	v_fma_f64 v[22:23], v[90:91], v[38:39], -v[16:17]
	v_fma_f64 v[80:81], v[70:71], v[56:57], -v[8:9]
	s_waitcnt lgkmcnt(0)
	v_fma_f64 v[24:25], v[99:100], v[78:79], v[107:108]
	v_fma_f64 v[30:31], v[99:100], v[76:77], -v[14:15]
	v_fma_f64 v[58:59], v[6:7], v[84:85], v[109:110]
	v_fma_f64 v[66:67], v[6:7], v[82:83], -v[111:112]
	v_add_f64 v[94:95], v[74:75], -v[20:21]
	v_add_f64 v[76:77], v[88:89], v[18:19]
	v_add_f64 v[92:93], v[88:89], -v[18:19]
	v_mul_f64 v[6:7], v[105:106], s[2:3]
	v_mul_f64 v[12:13], v[12:13], v[62:63]
	v_fma_f64 v[28:29], v[97:98], v[62:63], v[103:104]
	v_fma_f64 v[70:71], v[72:73], v[64:65], -v[10:11]
	v_add_f64 v[64:65], v[80:81], v[22:23]
	v_add_f64 v[78:79], v[86:87], v[2:3]
	v_add_f64 v[82:83], v[80:81], -v[22:23]
	v_add_f64 v[90:91], v[68:69], -v[24:25]
	v_mul_f64 v[8:9], v[92:93], s[2:3]
	v_mul_f64 v[10:11], v[94:95], s[22:23]
	v_fma_f64 v[107:108], v[76:77], s[0:1], v[6:7]
	v_fma_f64 v[34:35], v[97:98], v[60:61], -v[12:13]
	v_add_f64 v[50:51], v[74:75], v[20:21]
	v_add_f64 v[62:63], v[70:71], v[30:31]
	v_add_f64 v[84:85], v[58:59], -v[28:29]
	v_mul_f64 v[12:13], v[82:83], s[22:23]
	v_mul_f64 v[14:15], v[90:91], s[8:9]
	v_fma_f64 v[115:116], v[78:79], s[0:1], -v[8:9]
	v_fma_f64 v[6:7], v[76:77], s[0:1], -v[6:7]
	v_fma_f64 v[119:120], v[64:65], s[4:5], v[10:11]
	v_add_f64 v[107:108], v[4:5], v[107:108]
	v_add_f64 v[72:73], v[70:71], -v[30:31]
	v_add_f64 v[52:53], v[66:67], v[34:35]
	v_mul_f64 v[97:98], v[84:85], s[20:21]
	v_mul_f64 v[109:110], v[105:106], s[8:9]
	v_fma_f64 v[121:122], v[50:51], s[4:5], -v[12:13]
	v_fma_f64 v[10:11], v[64:65], s[4:5], -v[10:11]
	v_fma_f64 v[8:9], v[78:79], s[0:1], v[8:9]
	v_add_f64 v[115:116], v[0:1], v[115:116]
	v_fma_f64 v[123:124], v[62:63], s[6:7], v[14:15]
	v_add_f64 v[6:7], v[4:5], v[6:7]
	v_add_f64 v[107:108], v[119:120], v[107:108]
	;; [unrolled: 1-line block ×3, first 2 shown]
	v_add_f64 v[56:57], v[66:67], -v[34:35]
	v_add_f64 v[60:61], v[36:37], -v[26:27]
	v_mul_f64 v[16:17], v[72:73], s[8:9]
	v_mul_f64 v[111:112], v[94:95], s[24:25]
	;; [unrolled: 1-line block ×3, first 2 shown]
	v_fma_f64 v[12:13], v[50:51], s[4:5], v[12:13]
	v_fma_f64 v[14:15], v[62:63], s[6:7], -v[14:15]
	v_fma_f64 v[119:120], v[52:53], s[10:11], v[97:98]
	v_add_f64 v[115:116], v[121:122], v[115:116]
	v_fma_f64 v[121:122], v[76:77], s[6:7], v[109:110]
	v_add_f64 v[8:9], v[0:1], v[8:9]
	v_add_f64 v[6:7], v[10:11], v[6:7]
	;; [unrolled: 1-line block ×5, first 2 shown]
	v_add_f64 v[48:49], v[42:43], -v[32:33]
	v_mul_f64 v[99:100], v[56:57], s[20:21]
	v_mul_f64 v[101:102], v[60:61], s[18:19]
	;; [unrolled: 1-line block ×3, first 2 shown]
	v_fma_f64 v[125:126], v[46:47], s[6:7], -v[16:17]
	v_fma_f64 v[16:17], v[46:47], s[6:7], v[16:17]
	v_fma_f64 v[123:124], v[64:65], s[16:17], v[111:112]
	v_add_f64 v[121:122], v[4:5], v[121:122]
	v_add_f64 v[8:9], v[12:13], v[8:9]
	;; [unrolled: 1-line block ×4, first 2 shown]
	v_fma_f64 v[14:15], v[78:79], s[6:7], -v[117:118]
	v_mul_f64 v[119:120], v[82:83], s[24:25]
	v_add_f64 v[40:41], v[36:37], v[26:27]
	v_mul_f64 v[103:104], v[48:49], s[18:19]
	v_fma_f64 v[107:108], v[44:45], s[10:11], -v[99:100]
	v_add_f64 v[115:116], v[125:126], v[115:116]
	v_fma_f64 v[12:13], v[38:39], s[16:17], v[101:102]
	v_fma_f64 v[97:98], v[52:53], s[10:11], -v[97:98]
	v_add_f64 v[121:122], v[123:124], v[121:122]
	v_fma_f64 v[123:124], v[62:63], s[4:5], v[113:114]
	v_mul_f64 v[125:126], v[84:85], s[2:3]
	v_add_f64 v[14:15], v[0:1], v[14:15]
	v_fma_f64 v[127:128], v[50:51], s[16:17], -v[119:120]
	v_mul_f64 v[129:130], v[72:73], s[26:27]
	v_add_f64 v[16:17], v[16:17], v[8:9]
	v_fma_f64 v[99:100], v[44:45], s[10:11], v[99:100]
	v_add_f64 v[107:108], v[107:108], v[115:116]
	v_fma_f64 v[115:116], v[40:41], s[16:17], -v[103:104]
	v_add_f64 v[8:9], v[12:13], v[10:11]
	v_add_f64 v[10:11], v[97:98], v[6:7]
	;; [unrolled: 1-line block ×3, first 2 shown]
	v_fma_f64 v[12:13], v[52:53], s[0:1], v[125:126]
	v_add_f64 v[14:15], v[127:128], v[14:15]
	v_fma_f64 v[97:98], v[46:47], s[4:5], -v[129:130]
	v_mul_f64 v[121:122], v[56:57], s[2:3]
	v_add_f64 v[99:100], v[99:100], v[16:17]
	v_fma_f64 v[16:17], v[38:39], s[16:17], -v[101:102]
	v_fma_f64 v[101:102], v[76:77], s[6:7], -v[109:110]
	v_fma_f64 v[103:104], v[40:41], s[16:17], v[103:104]
	v_add_f64 v[12:13], v[12:13], v[6:7]
	v_add_f64 v[6:7], v[115:116], v[107:108]
	;; [unrolled: 1-line block ×3, first 2 shown]
	v_fma_f64 v[109:110], v[44:45], s[0:1], -v[121:122]
	v_fma_f64 v[107:108], v[64:65], s[16:17], -v[111:112]
	v_add_f64 v[16:17], v[16:17], v[10:11]
	v_add_f64 v[101:102], v[4:5], v[101:102]
	v_fma_f64 v[10:11], v[78:79], s[6:7], v[117:118]
	v_mul_f64 v[123:124], v[60:61], s[20:21]
	v_add_f64 v[14:15], v[103:104], v[99:100]
	v_mul_f64 v[99:100], v[105:106], s[18:19]
	v_add_f64 v[97:98], v[109:110], v[97:98]
	v_mul_f64 v[103:104], v[48:49], s[20:21]
	v_fma_f64 v[109:110], v[50:51], s[16:17], v[119:120]
	v_add_f64 v[101:102], v[107:108], v[101:102]
	v_fma_f64 v[107:108], v[62:63], s[4:5], -v[113:114]
	v_add_f64 v[10:11], v[0:1], v[10:11]
	v_fma_f64 v[127:128], v[38:39], s[10:11], v[123:124]
	v_fma_f64 v[111:112], v[76:77], s[16:17], v[99:100]
	v_mul_f64 v[113:114], v[94:95], s[28:29]
	v_fma_f64 v[115:116], v[40:41], s[10:11], -v[103:104]
	v_fma_f64 v[117:118], v[46:47], s[4:5], v[129:130]
	v_fma_f64 v[119:120], v[52:53], s[0:1], -v[125:126]
	v_add_f64 v[101:102], v[107:108], v[101:102]
	v_mul_f64 v[107:108], v[92:93], s[18:19]
	v_add_f64 v[109:110], v[109:110], v[10:11]
	v_add_f64 v[12:13], v[127:128], v[12:13]
	v_add_f64 v[111:112], v[4:5], v[111:112]
	v_fma_f64 v[125:126], v[64:65], s[0:1], v[113:114]
	v_mul_f64 v[127:128], v[90:91], s[20:21]
	v_add_f64 v[10:11], v[115:116], v[97:98]
	v_mul_f64 v[115:116], v[82:83], s[28:29]
	v_fma_f64 v[97:98], v[78:79], s[16:17], -v[107:108]
	v_add_f64 v[109:110], v[117:118], v[109:110]
	v_fma_f64 v[117:118], v[44:45], s[0:1], v[121:122]
	v_add_f64 v[101:102], v[119:120], v[101:102]
	v_add_f64 v[111:112], v[125:126], v[111:112]
	v_fma_f64 v[119:120], v[62:63], s[10:11], v[127:128]
	v_mul_f64 v[121:122], v[84:85], s[26:27]
	v_fma_f64 v[125:126], v[50:51], s[0:1], -v[115:116]
	v_add_f64 v[97:98], v[0:1], v[97:98]
	v_mul_f64 v[129:130], v[72:73], s[20:21]
	v_fma_f64 v[123:124], v[38:39], s[10:11], -v[123:124]
	v_add_f64 v[109:110], v[117:118], v[109:110]
	v_fma_f64 v[117:118], v[76:77], s[16:17], -v[99:100]
	v_fma_f64 v[103:104], v[40:41], s[10:11], v[103:104]
	v_add_f64 v[111:112], v[119:120], v[111:112]
	v_fma_f64 v[119:120], v[52:53], s[4:5], v[121:122]
	v_add_f64 v[125:126], v[125:126], v[97:98]
	v_fma_f64 v[131:132], v[46:47], s[10:11], -v[129:130]
	v_add_f64 v[99:100], v[123:124], v[101:102]
	v_mul_f64 v[101:102], v[56:57], s[26:27]
	v_fma_f64 v[107:108], v[78:79], s[16:17], v[107:108]
	v_fma_f64 v[113:114], v[64:65], s[0:1], -v[113:114]
	v_add_f64 v[117:118], v[4:5], v[117:118]
	s_mov_b32 s21, 0xbfed1bb4
	v_add_f64 v[97:98], v[103:104], v[109:110]
	v_add_f64 v[103:104], v[119:120], v[111:112]
	v_add_f64 v[109:110], v[131:132], v[125:126]
	v_mul_f64 v[111:112], v[60:61], s[8:9]
	v_fma_f64 v[115:116], v[50:51], s[0:1], v[115:116]
	v_add_f64 v[107:108], v[0:1], v[107:108]
	v_fma_f64 v[119:120], v[44:45], s[4:5], -v[101:102]
	v_add_f64 v[113:114], v[113:114], v[117:118]
	v_fma_f64 v[117:118], v[62:63], s[10:11], -v[127:128]
	v_mul_f64 v[123:124], v[105:106], s[20:21]
	v_mul_f64 v[127:128], v[48:49], s[8:9]
	v_fma_f64 v[125:126], v[38:39], s[6:7], v[111:112]
	v_mul_f64 v[131:132], v[90:91], s[28:29]
	v_add_f64 v[107:108], v[115:116], v[107:108]
	v_fma_f64 v[115:116], v[46:47], s[10:11], v[129:130]
	v_add_f64 v[109:110], v[119:120], v[109:110]
	v_add_f64 v[113:114], v[117:118], v[113:114]
	v_fma_f64 v[117:118], v[52:53], s[4:5], -v[121:122]
	v_fma_f64 v[119:120], v[76:77], s[10:11], v[123:124]
	v_mul_f64 v[121:122], v[94:95], s[8:9]
	v_add_f64 v[103:104], v[125:126], v[103:104]
	v_fma_f64 v[125:126], v[40:41], s[6:7], -v[127:128]
	v_add_f64 v[107:108], v[115:116], v[107:108]
	v_fma_f64 v[115:116], v[44:45], s[4:5], v[101:102]
	v_mul_f64 v[129:130], v[92:93], s[20:21]
	v_add_f64 v[113:114], v[117:118], v[113:114]
	v_add_f64 v[117:118], v[4:5], v[119:120]
	v_fma_f64 v[119:120], v[64:65], s[6:7], v[121:122]
	v_fma_f64 v[111:112], v[38:39], s[6:7], -v[111:112]
	v_add_f64 v[101:102], v[125:126], v[109:110]
	v_fma_f64 v[125:126], v[40:41], s[6:7], v[127:128]
	v_add_f64 v[109:110], v[115:116], v[107:108]
	v_fma_f64 v[115:116], v[78:79], s[10:11], -v[129:130]
	v_mul_f64 v[127:128], v[82:83], s[8:9]
	v_mul_f64 v[133:134], v[72:73], s[28:29]
	v_add_f64 v[117:118], v[119:120], v[117:118]
	v_fma_f64 v[119:120], v[62:63], s[0:1], v[131:132]
	v_add_f64 v[107:108], v[111:112], v[113:114]
	v_fma_f64 v[111:112], v[76:77], s[10:11], -v[123:124]
	v_mul_f64 v[113:114], v[84:85], s[24:25]
	v_fma_f64 v[123:124], v[78:79], s[10:11], v[129:130]
	v_add_f64 v[115:116], v[0:1], v[115:116]
	v_fma_f64 v[129:130], v[50:51], s[6:7], -v[127:128]
	v_fma_f64 v[127:128], v[50:51], s[6:7], v[127:128]
	v_add_f64 v[117:118], v[119:120], v[117:118]
	v_fma_f64 v[119:120], v[64:65], s[6:7], -v[121:122]
	v_add_f64 v[111:112], v[4:5], v[111:112]
	v_fma_f64 v[121:122], v[52:53], s[16:17], v[113:114]
	v_add_f64 v[123:124], v[0:1], v[123:124]
	v_add_f64 v[88:89], v[4:5], v[88:89]
	;; [unrolled: 1-line block ×3, first 2 shown]
	v_fma_f64 v[129:130], v[46:47], s[0:1], -v[133:134]
	v_mul_f64 v[135:136], v[56:57], s[24:25]
	v_mul_f64 v[137:138], v[60:61], s[22:23]
	v_add_f64 v[111:112], v[119:120], v[111:112]
	v_add_f64 v[117:118], v[121:122], v[117:118]
	;; [unrolled: 1-line block ×3, first 2 shown]
	v_fma_f64 v[123:124], v[46:47], s[0:1], v[133:134]
	v_mul_f64 v[133:134], v[105:106], s[26:27]
	v_add_f64 v[105:106], v[125:126], v[109:110]
	v_add_f64 v[125:126], v[0:1], v[86:87]
	v_fma_f64 v[119:120], v[62:63], s[0:1], -v[131:132]
	v_add_f64 v[80:81], v[80:81], v[88:89]
	v_fma_f64 v[113:114], v[52:53], s[16:17], -v[113:114]
	v_add_f64 v[115:116], v[129:130], v[115:116]
	v_add_f64 v[121:122], v[123:124], v[121:122]
	v_fma_f64 v[123:124], v[44:45], s[16:17], v[135:136]
	v_fma_f64 v[129:130], v[38:39], s[4:5], v[137:138]
	v_add_f64 v[74:75], v[74:75], v[125:126]
	v_add_f64 v[119:120], v[119:120], v[111:112]
	;; [unrolled: 1-line block ×3, first 2 shown]
	v_mul_f64 v[92:93], v[92:93], s[26:27]
	v_fma_f64 v[127:128], v[44:45], s[16:17], -v[135:136]
	v_mul_f64 v[94:95], v[94:95], s[20:21]
	v_mul_f64 v[82:83], v[82:83], s[20:21]
	v_add_f64 v[111:112], v[129:130], v[117:118]
	v_add_f64 v[68:69], v[68:69], v[74:75]
	v_add_f64 v[113:114], v[113:114], v[119:120]
	v_add_f64 v[119:120], v[123:124], v[121:122]
	v_fma_f64 v[121:122], v[38:39], s[4:5], -v[137:138]
	v_add_f64 v[66:67], v[66:67], v[70:71]
	v_fma_f64 v[117:118], v[76:77], s[4:5], v[133:134]
	v_fma_f64 v[76:77], v[76:77], s[4:5], -v[133:134]
	v_fma_f64 v[74:75], v[78:79], s[4:5], v[92:93]
	v_add_f64 v[58:59], v[58:59], v[68:69]
	v_add_f64 v[109:110], v[127:128], v[115:116]
	v_fma_f64 v[127:128], v[64:65], s[10:11], v[94:95]
	v_add_f64 v[88:89], v[121:122], v[113:114]
	v_fma_f64 v[113:114], v[78:79], s[4:5], -v[92:93]
	v_add_f64 v[42:43], v[42:43], v[66:67]
	v_add_f64 v[117:118], v[4:5], v[117:118]
	v_mul_f64 v[90:91], v[90:91], s[18:19]
	v_add_f64 v[36:37], v[36:37], v[58:59]
	v_add_f64 v[4:5], v[4:5], v[76:77]
	v_fma_f64 v[64:65], v[64:65], s[10:11], -v[94:95]
	v_fma_f64 v[92:93], v[50:51], s[10:11], -v[82:83]
	v_add_f64 v[78:79], v[0:1], v[113:114]
	v_mul_f64 v[70:71], v[72:73], s[18:19]
	v_add_f64 v[0:1], v[0:1], v[74:75]
	v_fma_f64 v[50:51], v[50:51], s[10:11], v[82:83]
	v_add_f64 v[32:33], v[32:33], v[42:43]
	v_add_f64 v[26:27], v[26:27], v[36:37]
	v_mul_f64 v[80:81], v[84:85], s[8:9]
	v_fma_f64 v[58:59], v[62:63], s[16:17], -v[90:91]
	v_add_f64 v[4:5], v[64:65], v[4:5]
	v_fma_f64 v[66:67], v[46:47], s[16:17], -v[70:71]
	v_mul_f64 v[56:57], v[56:57], s[8:9]
	v_fma_f64 v[46:47], v[46:47], s[16:17], v[70:71]
	v_add_f64 v[0:1], v[50:51], v[0:1]
	v_add_f64 v[32:33], v[34:35], v[32:33]
	v_add_f64 v[28:29], v[28:29], v[26:27]
	v_mul_f64 v[60:61], v[60:61], s[2:3]
	v_fma_f64 v[36:37], v[52:53], s[6:7], -v[80:81]
	v_add_f64 v[4:5], v[58:59], v[4:5]
	v_mul_f64 v[131:132], v[48:49], s[22:23]
	v_add_f64 v[68:69], v[92:93], v[78:79]
	v_mul_f64 v[34:35], v[48:49], s[2:3]
	v_fma_f64 v[48:49], v[44:45], s[6:7], -v[56:57]
	v_fma_f64 v[44:45], v[44:45], s[6:7], v[56:57]
	v_add_f64 v[0:1], v[46:47], v[0:1]
	v_add_f64 v[30:31], v[30:31], v[32:33]
	;; [unrolled: 1-line block ×3, first 2 shown]
	v_fma_f64 v[28:29], v[38:39], s[0:1], -v[60:61]
	v_add_f64 v[4:5], v[36:37], v[4:5]
	v_add_f64 v[42:43], v[66:67], v[68:69]
	v_fma_f64 v[32:33], v[40:41], s[0:1], -v[34:35]
	v_fma_f64 v[34:35], v[40:41], s[0:1], v[34:35]
	v_add_f64 v[0:1], v[44:45], v[0:1]
	v_fma_f64 v[72:73], v[52:53], s[6:7], v[80:81]
	v_fma_f64 v[52:53], v[38:39], s[0:1], v[60:61]
	v_mad_u64_u32 v[36:37], s[0:1], s12, v96, 0
	v_add_f64 v[30:31], v[22:23], v[30:31]
	v_add_f64 v[38:39], v[20:21], v[24:25]
	;; [unrolled: 1-line block ×3, first 2 shown]
	v_mov_b32_e32 v4, v37
	v_mad_u64_u32 v[28:29], s[0:1], s13, v96, v[4:5]
	v_add_f64 v[42:43], v[48:49], v[42:43]
	v_add_f64 v[20:21], v[34:35], v[0:1]
	v_mov_b32_e32 v37, v28
	v_add_u32_e32 v28, 48, v96
	v_add_f64 v[4:5], v[18:19], v[30:31]
	v_mad_u64_u32 v[18:19], s[0:1], s12, v28, 0
	v_add_f64 v[2:3], v[2:3], v[38:39]
	v_add_f64 v[24:25], v[32:33], v[42:43]
	v_mov_b32_e32 v0, s15
	v_add_co_u32_e32 v31, vcc, s14, v54
	v_mad_u64_u32 v[28:29], s[0:1], s13, v28, v[19:20]
	v_add_u32_e32 v33, 0x60, v96
	v_addc_co_u32_e32 v32, vcc, v0, v55, vcc
	v_lshlrev_b64 v[0:1], 4, v[36:37]
	v_mad_u64_u32 v[29:30], s[0:1], s12, v33, 0
	v_fma_f64 v[123:124], v[40:41], s[4:5], v[131:132]
	v_add_co_u32_e32 v0, vcc, v31, v0
	v_addc_co_u32_e32 v1, vcc, v32, v1, vcc
	global_store_dwordx4 v[0:1], v[2:5], off
	v_mov_b32_e32 v19, v28
	v_mov_b32_e32 v2, v30
	v_mad_u64_u32 v[2:3], s[0:1], s13, v33, v[2:3]
	v_add_u32_e32 v4, 0x90, v96
	v_add_f64 v[86:87], v[123:124], v[119:120]
	v_mov_b32_e32 v30, v2
	v_mad_u64_u32 v[2:3], s[0:1], s12, v4, 0
	v_lshlrev_b64 v[0:1], 4, v[18:19]
	v_or_b32_e32 v18, 0xc0, v96
	v_add_co_u32_e32 v0, vcc, v31, v0
	v_addc_co_u32_e32 v1, vcc, v32, v1, vcc
	v_mad_u64_u32 v[3:4], s[0:1], s13, v4, v[3:4]
	global_store_dwordx4 v[0:1], v[20:23], off
	v_lshlrev_b64 v[0:1], 4, v[29:30]
	v_mad_u64_u32 v[4:5], s[0:1], s12, v18, 0
	v_add_co_u32_e32 v0, vcc, v31, v0
	v_addc_co_u32_e32 v1, vcc, v32, v1, vcc
	global_store_dwordx4 v[0:1], v[86:89], off
	v_lshlrev_b64 v[0:1], 4, v[2:3]
	v_mov_b32_e32 v2, v5
	v_mad_u64_u32 v[2:3], s[0:1], s13, v18, v[2:3]
	v_add_co_u32_e32 v0, vcc, v31, v0
	v_addc_co_u32_e32 v1, vcc, v32, v1, vcc
	v_mov_b32_e32 v5, v2
	global_store_dwordx4 v[0:1], v[105:108], off
	v_lshlrev_b64 v[0:1], 4, v[4:5]
	v_add_u32_e32 v4, 0xf0, v96
	v_mad_u64_u32 v[2:3], s[0:1], s12, v4, 0
	v_add_u32_e32 v18, 0x120, v96
	v_add_co_u32_e32 v0, vcc, v31, v0
	v_mad_u64_u32 v[3:4], s[0:1], s13, v4, v[3:4]
	v_mad_u64_u32 v[4:5], s[0:1], s12, v18, 0
	v_addc_co_u32_e32 v1, vcc, v32, v1, vcc
	global_store_dwordx4 v[0:1], v[97:100], off
	v_lshlrev_b64 v[0:1], 4, v[2:3]
	v_mov_b32_e32 v2, v5
	v_mad_u64_u32 v[2:3], s[0:1], s13, v18, v[2:3]
	v_fma_f64 v[115:116], v[40:41], s[4:5], -v[131:132]
	v_add_co_u32_e32 v0, vcc, v31, v0
	v_addc_co_u32_e32 v1, vcc, v32, v1, vcc
	v_mov_b32_e32 v5, v2
	global_store_dwordx4 v[0:1], v[14:17], off
	v_lshlrev_b64 v[0:1], 4, v[4:5]
	v_add_u32_e32 v4, 0x150, v96
	v_mad_u64_u32 v[2:3], s[0:1], s12, v4, 0
	v_add_f64 v[109:110], v[115:116], v[109:110]
	v_add_f64 v[115:116], v[127:128], v[117:118]
	v_fma_f64 v[117:118], v[62:63], s[16:17], v[90:91]
	v_mad_u64_u32 v[3:4], s[0:1], s13, v4, v[3:4]
	v_or_b32_e32 v14, 0x180, v96
	v_mad_u64_u32 v[4:5], s[0:1], s12, v14, 0
	v_add_co_u32_e32 v0, vcc, v31, v0
	v_addc_co_u32_e32 v1, vcc, v32, v1, vcc
	global_store_dwordx4 v[0:1], v[6:9], off
	v_lshlrev_b64 v[0:1], 4, v[2:3]
	v_mov_b32_e32 v2, v5
	v_mad_u64_u32 v[2:3], s[0:1], s13, v14, v[2:3]
	v_add_f64 v[84:85], v[117:118], v[115:116]
	v_add_co_u32_e32 v0, vcc, v31, v0
	v_addc_co_u32_e32 v1, vcc, v32, v1, vcc
	v_mov_b32_e32 v5, v2
	global_store_dwordx4 v[0:1], v[10:13], off
	v_lshlrev_b64 v[0:1], 4, v[4:5]
	v_add_u32_e32 v4, 0x1b0, v96
	v_mad_u64_u32 v[2:3], s[0:1], s12, v4, 0
	v_add_f64 v[72:73], v[72:73], v[84:85]
	v_add_u32_e32 v6, 0x1e0, v96
	v_mad_u64_u32 v[3:4], s[0:1], s13, v4, v[3:4]
	v_mad_u64_u32 v[4:5], s[0:1], s12, v6, 0
	v_add_co_u32_e32 v0, vcc, v31, v0
	v_addc_co_u32_e32 v1, vcc, v32, v1, vcc
	global_store_dwordx4 v[0:1], v[101:104], off
	v_lshlrev_b64 v[0:1], 4, v[2:3]
	v_mov_b32_e32 v2, v5
	v_mad_u64_u32 v[2:3], s[0:1], s13, v6, v[2:3]
	v_add_f64 v[26:27], v[52:53], v[72:73]
	v_add_co_u32_e32 v0, vcc, v31, v0
	v_addc_co_u32_e32 v1, vcc, v32, v1, vcc
	v_mov_b32_e32 v5, v2
	global_store_dwordx4 v[0:1], v[109:112], off
	v_lshlrev_b64 v[0:1], 4, v[4:5]
	v_add_co_u32_e32 v0, vcc, v31, v0
	v_addc_co_u32_e32 v1, vcc, v32, v1, vcc
	global_store_dwordx4 v[0:1], v[24:27], off
.LBB0_37:
	s_endpgm
	.section	.rodata,"a",@progbits
	.p2align	6, 0x0
	.amdhsa_kernel fft_rtc_back_len528_factors_4_4_3_11_wgs_48_tpt_48_halfLds_dp_ip_CI_sbrr_dirReg
		.amdhsa_group_segment_fixed_size 0
		.amdhsa_private_segment_fixed_size 0
		.amdhsa_kernarg_size 88
		.amdhsa_user_sgpr_count 6
		.amdhsa_user_sgpr_private_segment_buffer 1
		.amdhsa_user_sgpr_dispatch_ptr 0
		.amdhsa_user_sgpr_queue_ptr 0
		.amdhsa_user_sgpr_kernarg_segment_ptr 1
		.amdhsa_user_sgpr_dispatch_id 0
		.amdhsa_user_sgpr_flat_scratch_init 0
		.amdhsa_user_sgpr_private_segment_size 0
		.amdhsa_uses_dynamic_stack 0
		.amdhsa_system_sgpr_private_segment_wavefront_offset 0
		.amdhsa_system_sgpr_workgroup_id_x 1
		.amdhsa_system_sgpr_workgroup_id_y 0
		.amdhsa_system_sgpr_workgroup_id_z 0
		.amdhsa_system_sgpr_workgroup_info 0
		.amdhsa_system_vgpr_workitem_id 0
		.amdhsa_next_free_vgpr 139
		.amdhsa_next_free_sgpr 30
		.amdhsa_reserve_vcc 1
		.amdhsa_reserve_flat_scratch 0
		.amdhsa_float_round_mode_32 0
		.amdhsa_float_round_mode_16_64 0
		.amdhsa_float_denorm_mode_32 3
		.amdhsa_float_denorm_mode_16_64 3
		.amdhsa_dx10_clamp 1
		.amdhsa_ieee_mode 1
		.amdhsa_fp16_overflow 0
		.amdhsa_exception_fp_ieee_invalid_op 0
		.amdhsa_exception_fp_denorm_src 0
		.amdhsa_exception_fp_ieee_div_zero 0
		.amdhsa_exception_fp_ieee_overflow 0
		.amdhsa_exception_fp_ieee_underflow 0
		.amdhsa_exception_fp_ieee_inexact 0
		.amdhsa_exception_int_div_zero 0
	.end_amdhsa_kernel
	.text
.Lfunc_end0:
	.size	fft_rtc_back_len528_factors_4_4_3_11_wgs_48_tpt_48_halfLds_dp_ip_CI_sbrr_dirReg, .Lfunc_end0-fft_rtc_back_len528_factors_4_4_3_11_wgs_48_tpt_48_halfLds_dp_ip_CI_sbrr_dirReg
                                        ; -- End function
	.section	.AMDGPU.csdata,"",@progbits
; Kernel info:
; codeLenInByte = 8668
; NumSgprs: 34
; NumVgprs: 139
; ScratchSize: 0
; MemoryBound: 1
; FloatMode: 240
; IeeeMode: 1
; LDSByteSize: 0 bytes/workgroup (compile time only)
; SGPRBlocks: 4
; VGPRBlocks: 34
; NumSGPRsForWavesPerEU: 34
; NumVGPRsForWavesPerEU: 139
; Occupancy: 1
; WaveLimiterHint : 1
; COMPUTE_PGM_RSRC2:SCRATCH_EN: 0
; COMPUTE_PGM_RSRC2:USER_SGPR: 6
; COMPUTE_PGM_RSRC2:TRAP_HANDLER: 0
; COMPUTE_PGM_RSRC2:TGID_X_EN: 1
; COMPUTE_PGM_RSRC2:TGID_Y_EN: 0
; COMPUTE_PGM_RSRC2:TGID_Z_EN: 0
; COMPUTE_PGM_RSRC2:TIDIG_COMP_CNT: 0
	.type	__hip_cuid_f1c5e7e99edebe43,@object ; @__hip_cuid_f1c5e7e99edebe43
	.section	.bss,"aw",@nobits
	.globl	__hip_cuid_f1c5e7e99edebe43
__hip_cuid_f1c5e7e99edebe43:
	.byte	0                               ; 0x0
	.size	__hip_cuid_f1c5e7e99edebe43, 1

	.ident	"AMD clang version 19.0.0git (https://github.com/RadeonOpenCompute/llvm-project roc-6.4.0 25133 c7fe45cf4b819c5991fe208aaa96edf142730f1d)"
	.section	".note.GNU-stack","",@progbits
	.addrsig
	.addrsig_sym __hip_cuid_f1c5e7e99edebe43
	.amdgpu_metadata
---
amdhsa.kernels:
  - .args:
      - .actual_access:  read_only
        .address_space:  global
        .offset:         0
        .size:           8
        .value_kind:     global_buffer
      - .offset:         8
        .size:           8
        .value_kind:     by_value
      - .actual_access:  read_only
        .address_space:  global
        .offset:         16
        .size:           8
        .value_kind:     global_buffer
      - .actual_access:  read_only
        .address_space:  global
        .offset:         24
        .size:           8
        .value_kind:     global_buffer
      - .offset:         32
        .size:           8
        .value_kind:     by_value
      - .actual_access:  read_only
        .address_space:  global
        .offset:         40
        .size:           8
        .value_kind:     global_buffer
      - .actual_access:  read_only
        .address_space:  global
        .offset:         48
        .size:           8
        .value_kind:     global_buffer
      - .offset:         56
        .size:           4
        .value_kind:     by_value
      - .actual_access:  read_only
        .address_space:  global
        .offset:         64
        .size:           8
        .value_kind:     global_buffer
      - .actual_access:  read_only
        .address_space:  global
        .offset:         72
        .size:           8
        .value_kind:     global_buffer
      - .address_space:  global
        .offset:         80
        .size:           8
        .value_kind:     global_buffer
    .group_segment_fixed_size: 0
    .kernarg_segment_align: 8
    .kernarg_segment_size: 88
    .language:       OpenCL C
    .language_version:
      - 2
      - 0
    .max_flat_workgroup_size: 48
    .name:           fft_rtc_back_len528_factors_4_4_3_11_wgs_48_tpt_48_halfLds_dp_ip_CI_sbrr_dirReg
    .private_segment_fixed_size: 0
    .sgpr_count:     34
    .sgpr_spill_count: 0
    .symbol:         fft_rtc_back_len528_factors_4_4_3_11_wgs_48_tpt_48_halfLds_dp_ip_CI_sbrr_dirReg.kd
    .uniform_work_group_size: 1
    .uses_dynamic_stack: false
    .vgpr_count:     139
    .vgpr_spill_count: 0
    .wavefront_size: 64
amdhsa.target:   amdgcn-amd-amdhsa--gfx906
amdhsa.version:
  - 1
  - 2
...

	.end_amdgpu_metadata
